;; amdgpu-corpus repo=zjin-lcf/HeCBench kind=compiled arch=gfx906 opt=O3
	.amdgcn_target "amdgcn-amd-amdhsa--gfx906"
	.amdhsa_code_object_version 6
	.text
	.protected	_Z10pathfinderPKiS0_PiS1_iiiii ; -- Begin function _Z10pathfinderPKiS0_PiS1_iiiii
	.globl	_Z10pathfinderPKiS0_PiS1_iiiii
	.p2align	8
	.type	_Z10pathfinderPKiS0_PiS1_iiiii,@function
_Z10pathfinderPKiS0_PiS1_iiiii:         ; @_Z10pathfinderPKiS0_PiS1_iiiii
; %bb.0:
	s_load_dword s0, s[4:5], 0x44
	s_load_dwordx4 s[8:11], s[4:5], 0x20
	s_load_dwordx2 s[16:17], s[4:5], 0x8
	v_lshlrev_b32_e32 v4, 2, v0
	s_waitcnt lgkmcnt(0)
	s_and_b32 s23, s0, 0xffff
	s_mul_i32 s0, s8, s9
	s_lshl_b32 s0, s0, 1
	s_sub_i32 s9, s23, s0
	s_mul_i32 s9, s9, s6
	s_sub_i32 s2, s9, s10
	v_add_u32_e32 v1, s2, v0
	v_cmp_lt_i32_e32 vcc, -1, v1
	v_cmp_gt_i32_e64 s[0:1], s11, v1
	s_and_b64 s[6:7], vcc, s[0:1]
	s_and_saveexec_b64 s[0:1], s[6:7]
	s_cbranch_execz .LBB0_2
; %bb.1:
	v_mov_b32_e32 v2, 0
	v_lshlrev_b64 v[2:3], 2, v[1:2]
	v_mov_b32_e32 v5, s17
	v_add_co_u32_e32 v2, vcc, s16, v2
	v_addc_co_u32_e32 v3, vcc, v5, v3, vcc
	global_load_dword v2, v[2:3], off
	s_waitcnt vmcnt(0)
	ds_write_b32 v4, v2
.LBB0_2:
	s_or_b64 exec, exec, s[0:1]
	s_load_dwordx2 s[6:7], s[4:5], 0x10
	s_cmp_lt_i32 s8, 1
	s_waitcnt lgkmcnt(0)
	s_barrier
	s_cbranch_scc1 .LBB0_22
; %bb.3:
	s_add_i32 s0, s2, s23
	s_sub_i32 s1, 0, s2
	s_ashr_i32 s2, s2, 31
	s_and_b32 s1, s2, s1
	s_sub_i32 s2, s11, s0
	s_cmp_lt_i32 s11, s0
	s_load_dwordx2 s[12:13], s[4:5], 0x0
	s_load_dword s22, s[4:5], 0x30
	s_cselect_b32 s0, s2, 0
	s_add_i32 s0, s23, s0
	s_add_i32 s2, s0, -1
	v_add_u32_e32 v2, -1, v0
	v_add_u32_e32 v3, 1, v0
	v_max_i32_e32 v2, s1, v2
	v_min_i32_e32 v3, s2, v3
	v_cmp_le_i32_e64 s[0:1], s1, v0
	v_cmp_ge_i32_e64 s[2:3], s2, v0
	s_add_i32 s23, s23, -2
	v_lshlrev_b32_e32 v5, 2, v2
	v_lshlrev_b32_e32 v6, 2, v3
	v_add_u32_e32 v7, 0x3f0, v4
	v_cmp_ne_u32_e32 vcc, 0, v0
	s_mov_b64 s[14:15], 0
	s_and_saveexec_b64 s[18:19], vcc
	s_cbranch_execz .LBB0_9
; %bb.4:
	v_cmp_ge_i32_e32 vcc, s23, v0
	s_and_b64 s[14:15], vcc, s[0:1]
	s_and_b64 s[24:25], s[14:15], s[2:3]
	s_mov_b64 s[20:21], 0
	s_and_saveexec_b64 s[14:15], s[24:25]
	s_cbranch_execz .LBB0_8
; %bb.5:
	s_waitcnt lgkmcnt(0)
	s_mul_i32 s20, s22, s11
	v_add_u32_e32 v2, s20, v1
	v_ashrrev_i32_e32 v3, 31, v2
	v_lshlrev_b64 v[2:3], 2, v[2:3]
	v_mov_b32_e32 v8, s13
	v_add_co_u32_e32 v2, vcc, s12, v2
	v_addc_co_u32_e32 v3, vcc, v8, v3, vcc
	global_load_dword v2, v[2:3], off
	ds_read_b32 v3, v4
	ds_read_b32 v8, v5
	;; [unrolled: 1-line block ×3, first 2 shown]
	v_cmp_eq_u32_e32 vcc, 11, v0
	s_waitcnt lgkmcnt(0)
	v_min3_i32 v3, v8, v3, v9
	s_waitcnt vmcnt(0)
	v_add_u32_e32 v2, v3, v2
	ds_write_b32 v7, v2
	s_and_saveexec_b64 s[20:21], vcc
	s_cbranch_execz .LBB0_7
; %bb.6:
	v_ashrrev_i32_e32 v2, 31, v1
	v_lshlrev_b64 v[2:3], 2, v[1:2]
	v_mov_b32_e32 v8, s17
	v_add_co_u32_e32 v2, vcc, s16, v2
	v_addc_co_u32_e32 v3, vcc, v8, v3, vcc
	global_load_dword v2, v[2:3], off
	s_load_dwordx2 s[4:5], s[4:5], 0x18
	s_waitcnt lgkmcnt(0)
	v_mov_b32_e32 v8, s5
	s_waitcnt vmcnt(0)
	v_ashrrev_i32_e32 v3, 31, v2
	v_lshlrev_b64 v[2:3], 2, v[2:3]
	v_add_co_u32_e32 v2, vcc, s4, v2
	v_addc_co_u32_e32 v3, vcc, v8, v3, vcc
	v_mov_b32_e32 v8, 1
	global_store_dword v[2:3], v8, off
.LBB0_7:
	s_or_b64 exec, exec, s[20:21]
	s_mov_b64 s[20:21], exec
.LBB0_8:
	s_or_b64 exec, exec, s[14:15]
	s_and_b64 s[14:15], s[20:21], exec
.LBB0_9:
	s_or_b64 exec, exec, s[18:19]
	s_cmp_eq_u32 s8, 1
	s_waitcnt vmcnt(0) lgkmcnt(0)
	s_barrier
	s_cbranch_scc1 .LBB0_23
; %bb.10:
	s_and_saveexec_b64 s[4:5], s[14:15]
	s_cbranch_execz .LBB0_12
; %bb.11:
	ds_read_b32 v2, v7
	s_waitcnt lgkmcnt(0)
	ds_write_b32 v4, v2
.LBB0_12:
	s_or_b64 exec, exec, s[4:5]
	s_add_i32 s22, s22, 1
	s_mul_i32 s4, s11, s22
	s_add_i32 s4, s4, s9
	v_add_u32_e32 v2, s4, v0
	v_sub_u32_e32 v8, s23, v0
	v_subrev_u32_e32 v2, s10, v2
	s_mov_b32 s9, 2
	s_waitcnt lgkmcnt(0)
	s_barrier
                                        ; implicit-def: $sgpr14_sgpr15
	s_branch .LBB0_14
.LBB0_13:                               ;   in Loop: Header=BB0_14 Depth=1
	s_or_b64 exec, exec, s[4:5]
	s_add_i32 s9, s9, 1
	v_add_u32_e32 v2, s11, v2
	s_waitcnt lgkmcnt(0)
	s_barrier
.LBB0_14:                               ; =>This Inner Loop Header: Depth=1
	s_add_i32 s10, s9, -1
	v_cmp_lt_u32_e32 vcc, s10, v0
	s_andn2_b64 s[14:15], s[14:15], exec
	s_and_saveexec_b64 s[4:5], vcc
	s_cbranch_execz .LBB0_18
; %bb.15:                               ;   in Loop: Header=BB0_14 Depth=1
	v_cmp_le_i32_e32 vcc, s10, v8
	s_and_b64 s[16:17], vcc, s[0:1]
	s_and_b64 s[20:21], s[16:17], s[2:3]
	s_mov_b64 s[16:17], 0
	s_and_saveexec_b64 s[18:19], s[20:21]
	s_cbranch_execz .LBB0_17
; %bb.16:                               ;   in Loop: Header=BB0_14 Depth=1
	v_ashrrev_i32_e32 v3, 31, v2
	v_lshlrev_b64 v[9:10], 2, v[2:3]
	v_mov_b32_e32 v3, s13
	v_add_co_u32_e32 v9, vcc, s12, v9
	v_addc_co_u32_e32 v10, vcc, v3, v10, vcc
	global_load_dword v3, v[9:10], off
	ds_read_b32 v9, v4
	ds_read_b32 v10, v5
	;; [unrolled: 1-line block ×3, first 2 shown]
	s_mov_b64 s[16:17], exec
	s_waitcnt lgkmcnt(0)
	v_min3_i32 v9, v10, v9, v11
	s_waitcnt vmcnt(0)
	v_add_u32_e32 v3, v9, v3
	ds_write_b32 v7, v3
.LBB0_17:                               ;   in Loop: Header=BB0_14 Depth=1
	s_or_b64 exec, exec, s[18:19]
	s_andn2_b64 s[14:15], s[14:15], exec
	s_and_b64 s[16:17], s[16:17], exec
	s_or_b64 s[14:15], s[14:15], s[16:17]
.LBB0_18:                               ;   in Loop: Header=BB0_14 Depth=1
	s_or_b64 exec, exec, s[4:5]
	s_cmp_eq_u32 s8, s9
	s_waitcnt lgkmcnt(0)
	s_barrier
	s_cbranch_scc1 .LBB0_21
; %bb.19:                               ;   in Loop: Header=BB0_14 Depth=1
	s_and_saveexec_b64 s[4:5], s[14:15]
	s_cbranch_execz .LBB0_13
; %bb.20:                               ;   in Loop: Header=BB0_14 Depth=1
	ds_read_b32 v3, v7
	s_waitcnt lgkmcnt(0)
	ds_write_b32 v4, v3
	s_branch .LBB0_13
.LBB0_21:                               ;   in Loop: Header=BB0_14 Depth=1
                                        ; implicit-def: $sgpr9
                                        ; implicit-def: $vgpr2
	s_cbranch_execz .LBB0_14
	s_branch .LBB0_23
.LBB0_22:
                                        ; implicit-def: $sgpr14_sgpr15
.LBB0_23:
	s_and_saveexec_b64 s[0:1], s[14:15]
	s_cbranch_execz .LBB0_25
; %bb.24:
	v_ashrrev_i32_e32 v2, 31, v1
	ds_read_b32 v3, v4 offset:1008
	v_lshlrev_b64 v[0:1], 2, v[1:2]
	v_mov_b32_e32 v2, s7
	v_add_co_u32_e32 v0, vcc, s6, v0
	v_addc_co_u32_e32 v1, vcc, v2, v1, vcc
	s_waitcnt lgkmcnt(0)
	global_store_dword v[0:1], v3, off
.LBB0_25:
	s_endpgm
	.section	.rodata,"a",@progbits
	.p2align	6, 0x0
	.amdhsa_kernel _Z10pathfinderPKiS0_PiS1_iiiii
		.amdhsa_group_segment_fixed_size 2008
		.amdhsa_private_segment_fixed_size 0
		.amdhsa_kernarg_size 312
		.amdhsa_user_sgpr_count 6
		.amdhsa_user_sgpr_private_segment_buffer 1
		.amdhsa_user_sgpr_dispatch_ptr 0
		.amdhsa_user_sgpr_queue_ptr 0
		.amdhsa_user_sgpr_kernarg_segment_ptr 1
		.amdhsa_user_sgpr_dispatch_id 0
		.amdhsa_user_sgpr_flat_scratch_init 0
		.amdhsa_user_sgpr_private_segment_size 0
		.amdhsa_uses_dynamic_stack 0
		.amdhsa_system_sgpr_private_segment_wavefront_offset 0
		.amdhsa_system_sgpr_workgroup_id_x 1
		.amdhsa_system_sgpr_workgroup_id_y 0
		.amdhsa_system_sgpr_workgroup_id_z 0
		.amdhsa_system_sgpr_workgroup_info 0
		.amdhsa_system_vgpr_workitem_id 0
		.amdhsa_next_free_vgpr 29
		.amdhsa_next_free_sgpr 61
		.amdhsa_reserve_vcc 1
		.amdhsa_reserve_flat_scratch 0
		.amdhsa_float_round_mode_32 0
		.amdhsa_float_round_mode_16_64 0
		.amdhsa_float_denorm_mode_32 3
		.amdhsa_float_denorm_mode_16_64 3
		.amdhsa_dx10_clamp 1
		.amdhsa_ieee_mode 1
		.amdhsa_fp16_overflow 0
		.amdhsa_exception_fp_ieee_invalid_op 0
		.amdhsa_exception_fp_denorm_src 0
		.amdhsa_exception_fp_ieee_div_zero 0
		.amdhsa_exception_fp_ieee_overflow 0
		.amdhsa_exception_fp_ieee_underflow 0
		.amdhsa_exception_fp_ieee_inexact 0
		.amdhsa_exception_int_div_zero 0
	.end_amdhsa_kernel
	.text
.Lfunc_end0:
	.size	_Z10pathfinderPKiS0_PiS1_iiiii, .Lfunc_end0-_Z10pathfinderPKiS0_PiS1_iiiii
                                        ; -- End function
	.set _Z10pathfinderPKiS0_PiS1_iiiii.num_vgpr, 12
	.set _Z10pathfinderPKiS0_PiS1_iiiii.num_agpr, 0
	.set _Z10pathfinderPKiS0_PiS1_iiiii.numbered_sgpr, 26
	.set _Z10pathfinderPKiS0_PiS1_iiiii.num_named_barrier, 0
	.set _Z10pathfinderPKiS0_PiS1_iiiii.private_seg_size, 0
	.set _Z10pathfinderPKiS0_PiS1_iiiii.uses_vcc, 1
	.set _Z10pathfinderPKiS0_PiS1_iiiii.uses_flat_scratch, 0
	.set _Z10pathfinderPKiS0_PiS1_iiiii.has_dyn_sized_stack, 0
	.set _Z10pathfinderPKiS0_PiS1_iiiii.has_recursion, 0
	.set _Z10pathfinderPKiS0_PiS1_iiiii.has_indirect_call, 0
	.section	.AMDGPU.csdata,"",@progbits
; Kernel info:
; codeLenInByte = 888
; TotalNumSgprs: 30
; NumVgprs: 12
; ScratchSize: 0
; MemoryBound: 0
; FloatMode: 240
; IeeeMode: 1
; LDSByteSize: 2008 bytes/workgroup (compile time only)
; SGPRBlocks: 8
; VGPRBlocks: 7
; NumSGPRsForWavesPerEU: 65
; NumVGPRsForWavesPerEU: 29
; Occupancy: 8
; WaveLimiterHint : 1
; COMPUTE_PGM_RSRC2:SCRATCH_EN: 0
; COMPUTE_PGM_RSRC2:USER_SGPR: 6
; COMPUTE_PGM_RSRC2:TRAP_HANDLER: 0
; COMPUTE_PGM_RSRC2:TGID_X_EN: 1
; COMPUTE_PGM_RSRC2:TGID_Y_EN: 0
; COMPUTE_PGM_RSRC2:TGID_Z_EN: 0
; COMPUTE_PGM_RSRC2:TIDIG_COMP_CNT: 0
	.section	.AMDGPU.gpr_maximums,"",@progbits
	.set amdgpu.max_num_vgpr, 0
	.set amdgpu.max_num_agpr, 0
	.set amdgpu.max_num_sgpr, 0
	.section	.AMDGPU.csdata,"",@progbits
	.type	__hip_cuid_bdbd660c319dae47,@object ; @__hip_cuid_bdbd660c319dae47
	.section	.bss,"aw",@nobits
	.globl	__hip_cuid_bdbd660c319dae47
__hip_cuid_bdbd660c319dae47:
	.byte	0                               ; 0x0
	.size	__hip_cuid_bdbd660c319dae47, 1

	.ident	"AMD clang version 22.0.0git (https://github.com/RadeonOpenCompute/llvm-project roc-7.2.4 26084 f58b06dce1f9c15707c5f808fd002e18c2accf7e)"
	.section	".note.GNU-stack","",@progbits
	.addrsig
	.addrsig_sym __hip_cuid_bdbd660c319dae47
	.amdgpu_metadata
---
amdhsa.kernels:
  - .args:
      - .actual_access:  read_only
        .address_space:  global
        .offset:         0
        .size:           8
        .value_kind:     global_buffer
      - .actual_access:  read_only
        .address_space:  global
        .offset:         8
        .size:           8
        .value_kind:     global_buffer
      - .actual_access:  write_only
        .address_space:  global
        .offset:         16
        .size:           8
        .value_kind:     global_buffer
      - .actual_access:  write_only
        .address_space:  global
        .offset:         24
        .size:           8
        .value_kind:     global_buffer
      - .offset:         32
        .size:           4
        .value_kind:     by_value
      - .offset:         36
        .size:           4
        .value_kind:     by_value
      - .offset:         40
        .size:           4
        .value_kind:     by_value
      - .offset:         44
        .size:           4
        .value_kind:     by_value
      - .offset:         48
        .size:           4
        .value_kind:     by_value
      - .offset:         56
        .size:           4
        .value_kind:     hidden_block_count_x
      - .offset:         60
        .size:           4
        .value_kind:     hidden_block_count_y
      - .offset:         64
        .size:           4
        .value_kind:     hidden_block_count_z
      - .offset:         68
        .size:           2
        .value_kind:     hidden_group_size_x
      - .offset:         70
        .size:           2
        .value_kind:     hidden_group_size_y
      - .offset:         72
        .size:           2
        .value_kind:     hidden_group_size_z
      - .offset:         74
        .size:           2
        .value_kind:     hidden_remainder_x
      - .offset:         76
        .size:           2
        .value_kind:     hidden_remainder_y
      - .offset:         78
        .size:           2
        .value_kind:     hidden_remainder_z
      - .offset:         96
        .size:           8
        .value_kind:     hidden_global_offset_x
      - .offset:         104
        .size:           8
        .value_kind:     hidden_global_offset_y
      - .offset:         112
        .size:           8
        .value_kind:     hidden_global_offset_z
      - .offset:         120
        .size:           2
        .value_kind:     hidden_grid_dims
    .group_segment_fixed_size: 2008
    .kernarg_segment_align: 8
    .kernarg_segment_size: 312
    .language:       OpenCL C
    .language_version:
      - 2
      - 0
    .max_flat_workgroup_size: 1024
    .name:           _Z10pathfinderPKiS0_PiS1_iiiii
    .private_segment_fixed_size: 0
    .sgpr_count:     30
    .sgpr_spill_count: 0
    .symbol:         _Z10pathfinderPKiS0_PiS1_iiiii.kd
    .uniform_work_group_size: 1
    .uses_dynamic_stack: false
    .vgpr_count:     12
    .vgpr_spill_count: 0
    .wavefront_size: 64
amdhsa.target:   amdgcn-amd-amdhsa--gfx906
amdhsa.version:
  - 1
  - 2
...

	.end_amdgpu_metadata
